;; amdgpu-corpus repo=ROCm/rocFFT kind=compiled arch=gfx906 opt=O3
	.text
	.amdgcn_target "amdgcn-amd-amdhsa--gfx906"
	.amdhsa_code_object_version 6
	.protected	bluestein_single_fwd_len15_dim1_half_op_CI_CI ; -- Begin function bluestein_single_fwd_len15_dim1_half_op_CI_CI
	.globl	bluestein_single_fwd_len15_dim1_half_op_CI_CI
	.p2align	8
	.type	bluestein_single_fwd_len15_dim1_half_op_CI_CI,@function
bluestein_single_fwd_len15_dim1_half_op_CI_CI: ; @bluestein_single_fwd_len15_dim1_half_op_CI_CI
; %bb.0:
	v_mul_u32_u24_e32 v1, 0x3334, v0
	s_load_dwordx4 s[16:19], s[4:5], 0x28
	v_lshrrev_b32_e32 v1, 16, v1
	v_mad_u64_u32 v[4:5], s[0:1], s6, 25, v[1:2]
	v_mov_b32_e32 v5, 0
	s_waitcnt lgkmcnt(0)
	v_cmp_gt_u64_e32 vcc, s[16:17], v[4:5]
	s_and_saveexec_b64 s[0:1], vcc
	s_cbranch_execz .LBB0_10
; %bb.1:
	s_load_dwordx4 s[0:3], s[4:5], 0x18
	s_load_dwordx4 s[8:11], s[4:5], 0x0
	v_mul_lo_u16_e32 v1, 5, v1
	v_sub_u16_e32 v13, v0, v1
	v_lshlrev_b32_e32 v17, 2, v13
	s_waitcnt lgkmcnt(0)
	s_load_dwordx4 s[12:15], s[0:1], 0x0
	global_load_dword v15, v17, s[8:9]
                                        ; implicit-def: $vgpr25
                                        ; implicit-def: $vgpr21
                                        ; implicit-def: $vgpr26
	s_waitcnt lgkmcnt(0)
	v_mad_u64_u32 v[0:1], s[0:1], s14, v4, 0
	v_mad_u64_u32 v[2:3], s[0:1], s12, v13, 0
	s_mul_i32 s6, s13, 20
	s_movk_i32 s14, 0x3aee
	v_mad_u64_u32 v[5:6], s[0:1], s15, v4, v[1:2]
	v_mad_u64_u32 v[6:7], s[0:1], s13, v13, v[3:4]
	v_mov_b32_e32 v1, v5
	v_lshlrev_b64 v[0:1], 2, v[0:1]
	v_mov_b32_e32 v7, s19
	v_mov_b32_e32 v3, v6
	v_add_co_u32_e32 v5, vcc, s18, v0
	v_addc_co_u32_e32 v6, vcc, v7, v1, vcc
	v_lshlrev_b64 v[0:1], 2, v[2:3]
	s_mov_b32 s15, 0xffff
	v_add_co_u32_e32 v0, vcc, v5, v0
	v_addc_co_u32_e32 v1, vcc, v6, v1, vcc
	global_load_dword v2, v[0:1], off
	v_mad_u64_u32 v[0:1], s[0:1], s12, 20, v[0:1]
	v_mov_b32_e32 v6, s9
	v_cmp_gt_u16_e32 vcc, 3, v13
	v_add_u32_e32 v1, s6, v1
	global_load_dword v12, v17, s[8:9] offset:20
	global_load_dword v3, v[0:1], off
	v_mad_u64_u32 v[0:1], s[0:1], s12, 20, v[0:1]
	s_mov_b32 s0, 0x51eb851f
	s_load_dwordx2 s[12:13], s[4:5], 0x38
	v_add_u32_e32 v1, s6, v1
	global_load_dword v7, v[0:1], off
	global_load_dword v11, v17, s[8:9] offset:40
	v_mul_hi_u32 v0, v4, s0
	v_mul_lo_u16_e32 v1, 3, v13
	s_load_dwordx4 s[4:7], s[2:3], 0x0
	v_add_co_u32_e64 v5, s[0:1], s8, v17
	v_lshrrev_b32_e32 v0, 3, v0
	v_mul_lo_u32 v0, v0, 25
	v_addc_co_u32_e64 v6, s[0:1], 0, v6, s[0:1]
	v_sub_u32_e32 v0, v4, v0
	v_mul_u32_u24_e32 v0, 15, v0
	v_lshlrev_b32_e32 v16, 2, v0
	v_lshl_add_u32 v18, v1, 2, v16
	v_add_u32_e32 v14, v17, v16
	s_waitcnt vmcnt(4)
	v_lshrrev_b32_e32 v0, 16, v2
	v_mul_f16_sdwa v1, v15, v2 dst_sel:DWORD dst_unused:UNUSED_PAD src0_sel:WORD_1 src1_sel:DWORD
	v_mul_f16_sdwa v8, v15, v0 dst_sel:DWORD dst_unused:UNUSED_PAD src0_sel:WORD_1 src1_sel:DWORD
	v_fma_f16 v0, v15, v0, -v1
	v_fma_f16 v1, v15, v2, v8
	v_pack_b32_f16 v0, v1, v0
	s_waitcnt vmcnt(2)
	v_lshrrev_b32_e32 v1, 16, v3
	v_mul_f16_sdwa v2, v12, v3 dst_sel:DWORD dst_unused:UNUSED_PAD src0_sel:WORD_1 src1_sel:DWORD
	v_mul_f16_sdwa v8, v12, v1 dst_sel:DWORD dst_unused:UNUSED_PAD src0_sel:WORD_1 src1_sel:DWORD
	v_fma_f16 v1, v12, v1, -v2
	v_fma_f16 v2, v12, v3, v8
	v_pack_b32_f16 v1, v2, v1
	ds_write2_b32 v14, v0, v1 offset1:5
	s_waitcnt vmcnt(1)
	v_lshrrev_b32_e32 v0, 16, v7
	s_waitcnt vmcnt(0)
	v_mul_f16_sdwa v1, v11, v7 dst_sel:DWORD dst_unused:UNUSED_PAD src0_sel:WORD_1 src1_sel:DWORD
	v_mul_f16_sdwa v2, v11, v0 dst_sel:DWORD dst_unused:UNUSED_PAD src0_sel:WORD_1 src1_sel:DWORD
	v_fma_f16 v0, v11, v0, -v1
	v_fma_f16 v1, v11, v7, v2
	v_pack_b32_f16 v0, v1, v0
	ds_write_b32 v14, v0 offset:40
	s_waitcnt lgkmcnt(0)
	s_barrier
	ds_read2_b32 v[0:1], v14 offset1:5
	ds_read_b32 v2, v14 offset:40
	s_waitcnt lgkmcnt(0)
	s_barrier
	v_pk_add_f16 v3, v0, v1
	v_pk_add_f16 v8, v1, v2
	v_pk_add_f16 v1, v1, v2 neg_lo:[0,1] neg_hi:[0,1]
	v_pk_fma_f16 v0, v8, -0.5, v0 op_sel_hi:[1,0,1]
	v_pk_mul_f16 v1, v1, s14 op_sel_hi:[1,0]
	v_pk_add_f16 v8, v0, v1 op_sel:[0,1] op_sel_hi:[1,0]
	v_pk_add_f16 v9, v0, v1 op_sel:[0,1] op_sel_hi:[1,0] neg_lo:[0,1] neg_hi:[0,1]
	v_pk_add_f16 v7, v3, v2
	v_lshrrev_b32_e32 v19, 16, v8
	v_bfi_b32 v0, s15, v9, v8
	v_bfi_b32 v1, s15, v8, v9
	v_lshrrev_b32_e32 v20, 16, v9
	ds_write_b32 v18, v7
	ds_write2_b32 v18, v1, v0 offset0:1 offset1:2
	s_waitcnt lgkmcnt(0)
	s_barrier
	s_and_saveexec_b64 s[0:1], vcc
	s_cbranch_execz .LBB0_3
; %bb.2:
	ds_read2_b32 v[7:8], v14 offset1:3
	ds_read2_b32 v[9:10], v14 offset0:6 offset1:9
	ds_read_b32 v21, v14 offset:48
	s_waitcnt lgkmcnt(2)
	v_lshrrev_b32_e32 v20, 16, v8
	s_waitcnt lgkmcnt(1)
	v_lshrrev_b32_e32 v19, 16, v9
	v_lshrrev_b32_e32 v25, 16, v10
	s_waitcnt lgkmcnt(0)
	v_lshrrev_b32_e32 v26, 16, v21
.LBB0_3:
	s_or_b64 exec, exec, s[0:1]
	v_add_co_u32_e64 v0, s[0:1], -12, v17
	v_addc_co_u32_e64 v1, s[0:1], 0, -1, s[0:1]
	v_cndmask_b32_e64 v1, v1, 0, vcc
	v_cndmask_b32_e32 v0, v0, v17, vcc
	v_lshlrev_b64 v[0:1], 2, v[0:1]
	v_mov_b32_e32 v2, s11
	v_add_co_u32_e64 v0, s[0:1], s10, v0
	v_addc_co_u32_e64 v1, s[0:1], v2, v1, s[0:1]
	global_load_dwordx4 v[0:3], v[0:1], off
	v_lshrrev_b32_e32 v23, 16, v7
	s_movk_i32 s0, 0x3b9c
	s_mov_b32 s3, 0xbb9c
	s_movk_i32 s1, 0x38b4
	s_mov_b32 s10, 0xb8b4
	s_movk_i32 s2, 0x34f2
	s_waitcnt vmcnt(0)
	v_mul_f16_sdwa v22, v20, v0 dst_sel:DWORD dst_unused:UNUSED_PAD src0_sel:DWORD src1_sel:WORD_1
	v_mul_f16_sdwa v24, v8, v0 dst_sel:DWORD dst_unused:UNUSED_PAD src0_sel:DWORD src1_sel:WORD_1
	;; [unrolled: 1-line block ×8, first 2 shown]
	v_fma_f16 v22, v8, v0, -v22
	v_fma_f16 v27, v20, v0, v24
	v_fma_f16 v20, v9, v1, -v28
	v_fma_f16 v28, v19, v1, v29
	;; [unrolled: 2-line block ×4, first 2 shown]
	v_add_f16_e32 v8, v20, v24
	v_add_f16_e32 v19, v22, v21
	v_sub_f16_e32 v31, v20, v22
	v_sub_f16_e32 v33, v24, v21
	v_add_f16_e32 v34, v28, v25
	v_sub_f16_e32 v36, v27, v28
	v_sub_f16_e32 v38, v26, v25
	;; [unrolled: 3-line block ×3, first 2 shown]
	v_sub_f16_e32 v9, v22, v20
	v_sub_f16_e32 v10, v21, v24
	;; [unrolled: 1-line block ×4, first 2 shown]
	v_add_f16_e32 v37, v31, v33
	v_fma_f16 v31, v8, -0.5, v7
	v_fma_f16 v33, v19, -0.5, v7
	;; [unrolled: 1-line block ×3, first 2 shown]
	v_add_f16_e32 v39, v36, v38
	v_fma_f16 v36, v41, -0.5, v23
	v_sub_f16_e32 v42, v28, v27
	v_sub_f16_e32 v43, v25, v26
	v_add_f16_e32 v40, v9, v10
	v_fma_f16 v8, v29, s3, v31
	v_fma_f16 v9, v30, s0, v33
	;; [unrolled: 1-line block ×4, first 2 shown]
	v_add_f16_e32 v38, v42, v43
	v_fma_f16 v8, v30, s10, v8
	v_fma_f16 v41, v29, s10, v9
	;; [unrolled: 1-line block ×8, first 2 shown]
	s_and_saveexec_b64 s[0:1], vcc
	s_cbranch_execz .LBB0_5
; %bb.4:
	v_add_f16_e32 v23, v23, v27
	v_add_f16_e32 v23, v23, v28
	;; [unrolled: 1-line block ×3, first 2 shown]
	v_mul_f16_e32 v41, 0x3b9c, v29
	v_mul_f16_e32 v42, 0x38b4, v30
	;; [unrolled: 1-line block ×6, first 2 shown]
	v_add_f16_e32 v23, v23, v25
	v_add_f16_e32 v7, v7, v20
	v_mul_f16_e32 v29, 0x38b4, v29
	v_mul_f16_e32 v32, 0x38b4, v32
	v_add_f16_e32 v35, v35, v36
	v_sub_f16_e32 v34, v34, v43
	v_add_f16_e32 v23, v23, v26
	v_sub_f16_e32 v25, v33, v30
	v_add_f16_e32 v26, v31, v41
	v_add_f16_e32 v7, v7, v24
	v_mul_f16_e32 v40, 0x34f2, v40
	v_mul_f16_e32 v37, 0x34f2, v37
	;; [unrolled: 1-line block ×4, first 2 shown]
	v_sub_f16_e32 v32, v35, v32
	v_sub_f16_e32 v34, v34, v44
	v_add_f16_e32 v25, v29, v25
	v_add_f16_e32 v26, v42, v26
	;; [unrolled: 1-line block ×7, first 2 shown]
	v_pack_b32_f16 v7, v7, v23
	ds_write_b32 v14, v7
	v_lshl_add_u32 v7, v13, 2, v16
	v_pack_b32_f16 v20, v26, v34
	v_pack_b32_f16 v21, v25, v32
	s_mov_b32 s2, 0x5040100
	ds_write2_b32 v7, v20, v21 offset0:3 offset1:6
	v_perm_b32 v20, v19, v8, s2
	v_perm_b32 v21, v10, v9, s2
	ds_write2_b32 v7, v20, v21 offset0:9 offset1:12
.LBB0_5:
	s_or_b64 exec, exec, s[0:1]
	s_waitcnt lgkmcnt(0)
	s_barrier
	global_load_dword v7, v[5:6], off offset:60
	s_add_u32 s0, s8, 60
	s_addc_u32 s1, s9, 0
	global_load_dword v20, v17, s[0:1] offset:20
	global_load_dword v21, v17, s[0:1] offset:40
	ds_read2_b32 v[5:6], v14 offset1:5
	ds_read_b32 v17, v14 offset:40
	s_movk_i32 s0, 0x3aee
	s_waitcnt lgkmcnt(1)
	v_lshrrev_b32_e32 v22, 16, v5
	v_lshrrev_b32_e32 v23, 16, v6
	s_waitcnt lgkmcnt(0)
	v_lshrrev_b32_e32 v24, 16, v17
	s_waitcnt vmcnt(2)
	v_mul_f16_sdwa v25, v22, v7 dst_sel:DWORD dst_unused:UNUSED_PAD src0_sel:DWORD src1_sel:WORD_1
	v_mul_f16_sdwa v26, v5, v7 dst_sel:DWORD dst_unused:UNUSED_PAD src0_sel:DWORD src1_sel:WORD_1
	v_fma_f16 v5, v5, v7, -v25
	v_fma_f16 v7, v22, v7, v26
	v_pack_b32_f16 v5, v5, v7
	s_waitcnt vmcnt(1)
	v_mul_f16_sdwa v7, v23, v20 dst_sel:DWORD dst_unused:UNUSED_PAD src0_sel:DWORD src1_sel:WORD_1
	v_mul_f16_sdwa v22, v6, v20 dst_sel:DWORD dst_unused:UNUSED_PAD src0_sel:DWORD src1_sel:WORD_1
	s_waitcnt vmcnt(0)
	v_mul_f16_sdwa v25, v24, v21 dst_sel:DWORD dst_unused:UNUSED_PAD src0_sel:DWORD src1_sel:WORD_1
	v_mul_f16_sdwa v26, v17, v21 dst_sel:DWORD dst_unused:UNUSED_PAD src0_sel:DWORD src1_sel:WORD_1
	v_fma_f16 v6, v6, v20, -v7
	v_fma_f16 v7, v23, v20, v22
	v_fma_f16 v17, v17, v21, -v25
	v_fma_f16 v20, v24, v21, v26
	v_pack_b32_f16 v6, v6, v7
	v_pack_b32_f16 v7, v17, v20
	ds_write2_b32 v14, v5, v6 offset1:5
	ds_write_b32 v14, v7 offset:40
	s_waitcnt lgkmcnt(0)
	s_barrier
	ds_read2_b32 v[6:7], v14 offset1:5
	ds_read_b32 v5, v14 offset:40
	s_waitcnt lgkmcnt(0)
	s_barrier
	v_pk_add_f16 v17, v6, v7
	v_pk_add_f16 v20, v7, v5
	v_pk_add_f16 v7, v7, v5 neg_lo:[0,1] neg_hi:[0,1]
	v_pk_fma_f16 v6, v20, -0.5, v6 op_sel_hi:[1,0,1]
	v_pk_add_f16 v5, v17, v5
	v_pk_fma_f16 v17, v7, s0, v6 op_sel:[0,0,1] op_sel_hi:[1,0,0] neg_lo:[1,0,0] neg_hi:[1,0,0]
	v_pk_fma_f16 v7, v7, s0, v6 op_sel:[0,0,1] op_sel_hi:[1,0,0]
	v_lshrrev_b32_e32 v6, 16, v17
	v_alignbit_b32 v20, v17, v7, 16
	v_alignbit_b32 v21, v7, v17, 16
	ds_write_b32 v18, v5
	ds_write2_b32 v18, v21, v20 offset0:1 offset1:2
	s_waitcnt lgkmcnt(0)
	s_barrier
	s_and_saveexec_b64 s[0:1], vcc
	s_cbranch_execz .LBB0_7
; %bb.6:
	ds_read2_b32 v[7:8], v14 offset0:6 offset1:9
	ds_read_b32 v9, v14 offset:48
	ds_read2_b32 v[5:6], v14 offset1:3
	s_waitcnt lgkmcnt(2)
	v_lshrrev_b32_e32 v17, 16, v7
	v_lshrrev_b32_e32 v19, 16, v8
	s_waitcnt lgkmcnt(1)
	v_lshrrev_b32_e32 v10, 16, v9
	s_waitcnt lgkmcnt(0)
	v_alignbit_b32 v7, v7, v6, 16
.LBB0_7:
	s_or_b64 exec, exec, s[0:1]
	s_and_saveexec_b64 s[0:1], vcc
	s_cbranch_execz .LBB0_9
; %bb.8:
	v_lshrrev_b32_e32 v18, 16, v7
	v_mul_f16_sdwa v20, v1, v18 dst_sel:DWORD dst_unused:UNUSED_PAD src0_sel:WORD_1 src1_sel:DWORD
	v_fma_f16 v20, v1, v17, -v20
	v_mul_f16_sdwa v21, v0, v6 dst_sel:DWORD dst_unused:UNUSED_PAD src0_sel:WORD_1 src1_sel:DWORD
	v_mul_f16_sdwa v24, v3, v9 dst_sel:DWORD dst_unused:UNUSED_PAD src0_sel:WORD_1 src1_sel:DWORD
	;; [unrolled: 1-line block ×3, first 2 shown]
	v_fma_f16 v21, v0, v7, -v21
	v_mul_f16_sdwa v23, v2, v8 dst_sel:DWORD dst_unused:UNUSED_PAD src0_sel:WORD_1 src1_sel:DWORD
	v_fma_f16 v24, v3, v10, -v24
	v_fma_f16 v1, v1, v18, v17
	v_mul_f16_sdwa v17, v2, v19 dst_sel:DWORD dst_unused:UNUSED_PAD src0_sel:WORD_1 src1_sel:DWORD
	v_fma_f16 v23, v2, v19, -v23
	v_fma_f16 v2, v2, v8, v17
	v_add_f16_e32 v17, v21, v24
	v_lshrrev_b32_e32 v18, 16, v5
	v_mul_f16_sdwa v7, v0, v7 dst_sel:DWORD dst_unused:UNUSED_PAD src0_sel:WORD_1 src1_sel:DWORD
	v_sub_f16_e32 v8, v1, v2
	v_fma_f16 v17, v17, -0.5, v18
	s_movk_i32 s2, 0x3b9c
	v_fma_f16 v0, v0, v6, v7
	v_mul_f16_sdwa v6, v3, v10 dst_sel:DWORD dst_unused:UNUSED_PAD src0_sel:WORD_1 src1_sel:DWORD
	s_mov_b32 s9, 0xbb9c
	v_fma_f16 v19, v8, s2, v17
	v_fma_f16 v3, v3, v9, v6
	;; [unrolled: 1-line block ×3, first 2 shown]
	v_sub_f16_e32 v10, v21, v20
	v_sub_f16_e32 v17, v24, v23
	v_add_f16_e32 v10, v10, v17
	v_add_f16_e32 v17, v20, v23
	v_sub_f16_e32 v6, v0, v3
	s_mov_b32 s3, 0xb8b4
	s_movk_i32 s10, 0x38b4
	v_fma_f16 v17, v17, -0.5, v18
	v_fma_f16 v7, v6, s3, v19
	v_fma_f16 v9, v6, s10, v9
	;; [unrolled: 1-line block ×4, first 2 shown]
	s_movk_i32 s8, 0x34f2
	v_fma_f16 v19, v8, s3, v19
	v_fma_f16 v6, v8, s10, v6
	v_add_f16_e32 v8, v18, v21
	v_add_f16_e32 v18, v0, v3
	v_sub_f16_e32 v22, v20, v21
	v_fma_f16 v19, v10, s8, v19
	v_fma_f16 v6, v10, s8, v6
	v_add_f16_e32 v8, v8, v20
	v_sub_f16_e32 v10, v1, v0
	v_sub_f16_e32 v17, v2, v3
	v_fma_f16 v18, v18, -0.5, v5
	v_sub_f16_e32 v20, v20, v23
	v_sub_f16_e32 v25, v23, v24
	v_add_f16_e32 v10, v10, v17
	v_sub_f16_e32 v17, v21, v24
	v_fma_f16 v21, v20, s9, v18
	v_fma_f16 v18, v20, s2, v18
	v_add_f16_e32 v22, v22, v25
	v_fma_f16 v21, v17, s10, v21
	v_fma_f16 v18, v17, s3, v18
	v_fma_f16 v7, v22, s8, v7
	v_fma_f16 v9, v22, s8, v9
	v_fma_f16 v21, v10, s8, v21
	v_fma_f16 v10, v10, s8, v18
	v_sub_f16_e32 v18, v0, v1
	v_sub_f16_e32 v22, v3, v2
	v_add_f16_e32 v18, v18, v22
	v_add_f16_e32 v22, v1, v2
	;; [unrolled: 1-line block ×3, first 2 shown]
	v_fma_f16 v22, v22, -0.5, v5
	v_add_f16_e32 v0, v0, v1
	v_add_f16_e32 v8, v8, v23
	v_fma_f16 v23, v17, s2, v22
	v_fma_f16 v17, v17, s9, v22
	v_add_f16_e32 v0, v0, v2
	v_add_f16_e32 v8, v8, v24
	v_fma_f16 v17, v20, s3, v17
	v_add_f16_e32 v0, v0, v3
	v_fma_f16 v23, v20, s10, v23
	v_fma_f16 v17, v18, s8, v17
	v_pack_b32_f16 v0, v0, v8
	v_fma_f16 v23, v18, s8, v23
	ds_write_b32 v14, v0
	v_lshl_add_u32 v0, v13, 2, v16
	v_pack_b32_f16 v1, v17, v6
	v_pack_b32_f16 v2, v10, v9
	ds_write2_b32 v0, v1, v2 offset0:3 offset1:6
	v_pack_b32_f16 v1, v21, v7
	v_pack_b32_f16 v2, v23, v19
	ds_write2_b32 v0, v1, v2 offset0:9 offset1:12
.LBB0_9:
	s_or_b64 exec, exec, s[0:1]
	s_waitcnt lgkmcnt(0)
	s_barrier
	ds_read2_b32 v[0:1], v14 offset1:5
	s_mov_b32 s2, 0x11111111
	s_mov_b32 s3, 0x3fb11111
	v_mad_u64_u32 v[5:6], s[0:1], s6, v4, 0
	s_waitcnt lgkmcnt(0)
	v_lshrrev_b32_e32 v8, 16, v0
	v_mul_f16_sdwa v2, v15, v8 dst_sel:DWORD dst_unused:UNUSED_PAD src0_sel:WORD_1 src1_sel:DWORD
	v_fma_f16 v2, v15, v0, v2
	v_cvt_f32_f16_e32 v2, v2
	s_movk_i32 s6, 0x1ff
	v_mad_u64_u32 v[6:7], s[0:1], s7, v4, v[6:7]
	v_cvt_f64_f32_e32 v[2:3], v2
	s_movk_i32 s7, 0xffe
	v_mul_f16_sdwa v0, v15, v0 dst_sel:DWORD dst_unused:UNUSED_PAD src0_sel:WORD_1 src1_sel:DWORD
	v_fma_f16 v0, v15, v8, -v0
	v_mul_f64 v[2:3], v[2:3], s[2:3]
	v_cvt_f32_f16_e32 v0, v0
	s_movk_i32 s9, 0x40f
	s_mov_b32 s8, 0x8000
	v_and_or_b32 v2, v3, s6, v2
	v_cmp_ne_u32_e32 vcc, 0, v2
	v_lshrrev_b32_e32 v4, 8, v3
	v_bfe_u32 v7, v3, 20, 11
	v_cndmask_b32_e64 v2, 0, 1, vcc
	v_sub_u32_e32 v9, 0x3f1, v7
	v_and_or_b32 v2, v4, s7, v2
	v_or_b32_e32 v4, 0x1000, v2
	v_med3_i32 v9, v9, 0, 13
	v_lshrrev_b32_e32 v10, v9, v4
	v_lshlrev_b32_e32 v9, v9, v10
	v_cmp_ne_u32_e32 vcc, v9, v4
	v_cndmask_b32_e64 v4, 0, 1, vcc
	v_add_u32_e32 v9, 0xfffffc10, v7
	v_or_b32_e32 v4, v10, v4
	v_lshl_or_b32 v7, v9, 12, v2
	v_cmp_gt_i32_e32 vcc, 1, v9
	v_cndmask_b32_e32 v4, v7, v4, vcc
	v_and_b32_e32 v7, 7, v4
	v_cmp_lt_i32_e32 vcc, 5, v7
	v_cmp_eq_u32_e64 s[0:1], 3, v7
	v_cvt_f64_f32_e32 v[7:8], v0
	v_lshrrev_b32_e32 v4, 2, v4
	s_or_b64 vcc, s[0:1], vcc
	v_addc_co_u32_e32 v4, vcc, 0, v4, vcc
	v_mul_f64 v[7:8], v[7:8], s[2:3]
	v_mov_b32_e32 v10, 0x7c00
	v_cmp_gt_i32_e32 vcc, 31, v9
	v_cndmask_b32_e32 v0, v10, v4, vcc
	v_cmp_ne_u32_e32 vcc, 0, v2
	v_cndmask_b32_e64 v2, 0, 1, vcc
	v_lshl_or_b32 v2, v2, 9, v10
	v_cmp_eq_u32_e32 vcc, s9, v9
	v_cndmask_b32_e32 v0, v0, v2, vcc
	v_lshrrev_b32_e32 v2, 16, v3
	v_and_or_b32 v9, v2, s8, v0
	v_and_or_b32 v0, v8, s6, v7
	v_cmp_ne_u32_e32 vcc, 0, v0
	v_cndmask_b32_e64 v0, 0, 1, vcc
	v_lshrrev_b32_e32 v2, 8, v8
	v_bfe_u32 v3, v8, 20, 11
	v_and_or_b32 v0, v2, s7, v0
	v_sub_u32_e32 v4, 0x3f1, v3
	v_or_b32_e32 v2, 0x1000, v0
	v_med3_i32 v4, v4, 0, 13
	v_lshrrev_b32_e32 v7, v4, v2
	v_lshlrev_b32_e32 v4, v4, v7
	v_cmp_ne_u32_e32 vcc, v4, v2
	v_cndmask_b32_e64 v2, 0, 1, vcc
	v_or_b32_e32 v2, v7, v2
	v_add_u32_e32 v7, 0xfffffc10, v3
	v_lshl_or_b32 v3, v7, 12, v0
	v_cmp_gt_i32_e32 vcc, 1, v7
	v_cndmask_b32_e32 v2, v3, v2, vcc
	v_and_b32_e32 v3, 7, v2
	v_cmp_lt_i32_e32 vcc, 5, v3
	v_cmp_eq_u32_e64 s[0:1], 3, v3
	v_lshrrev_b32_e32 v2, 2, v2
	s_or_b64 vcc, s[0:1], vcc
	v_addc_co_u32_e32 v2, vcc, 0, v2, vcc
	v_cmp_gt_i32_e32 vcc, 31, v7
	v_cndmask_b32_e32 v15, v10, v2, vcc
	v_mad_u64_u32 v[2:3], s[0:1], s4, v13, 0
	v_cmp_ne_u32_e32 vcc, 0, v0
	v_cndmask_b32_e64 v0, 0, 1, vcc
	v_lshl_or_b32 v16, v0, 9, v10
	v_mov_b32_e32 v0, v3
	v_mad_u64_u32 v[3:4], s[0:1], s5, v13, v[0:1]
	v_lshrrev_b32_e32 v4, 16, v8
	v_lshrrev_b32_e32 v8, 16, v1
	v_cmp_eq_u32_e32 vcc, s9, v7
	v_mul_f16_sdwa v7, v12, v8 dst_sel:DWORD dst_unused:UNUSED_PAD src0_sel:WORD_1 src1_sel:DWORD
	v_fma_f16 v7, v12, v1, v7
	v_cvt_f32_f16_e32 v7, v7
	v_cndmask_b32_e32 v0, v15, v16, vcc
	v_and_or_b32 v0, v4, s8, v0
	v_and_b32_e32 v4, 0xffff, v9
	v_lshl_or_b32 v0, v0, 16, v4
	v_lshlrev_b64 v[4:5], 2, v[5:6]
	v_cvt_f64_f32_e32 v[6:7], v7
	v_mov_b32_e32 v9, s13
	v_add_co_u32_e32 v13, vcc, s12, v4
	v_addc_co_u32_e32 v9, vcc, v9, v5, vcc
	v_mul_f64 v[4:5], v[6:7], s[2:3]
	v_lshlrev_b64 v[2:3], 2, v[2:3]
	v_mul_f16_sdwa v1, v12, v1 dst_sel:DWORD dst_unused:UNUSED_PAD src0_sel:WORD_1 src1_sel:DWORD
	v_add_co_u32_e32 v2, vcc, v13, v2
	v_addc_co_u32_e32 v3, vcc, v9, v3, vcc
	global_store_dword v[2:3], v0, off
	v_and_or_b32 v0, v5, s6, v4
	v_cmp_ne_u32_e32 vcc, 0, v0
	v_cndmask_b32_e64 v0, 0, 1, vcc
	v_lshrrev_b32_e32 v4, 8, v5
	v_bfe_u32 v7, v5, 20, 11
	v_and_or_b32 v4, v4, s7, v0
	v_sub_u32_e32 v9, 0x3f1, v7
	v_or_b32_e32 v0, 0x1000, v4
	v_med3_i32 v9, v9, 0, 13
	v_lshrrev_b32_e32 v13, v9, v0
	v_lshlrev_b32_e32 v9, v9, v13
	v_fma_f16 v1, v12, v8, -v1
	v_cmp_ne_u32_e32 vcc, v9, v0
	v_cvt_f32_f16_e32 v1, v1
	v_cndmask_b32_e64 v0, 0, 1, vcc
	v_add_u32_e32 v7, 0xfffffc10, v7
	v_or_b32_e32 v0, v13, v0
	v_lshl_or_b32 v9, v7, 12, v4
	v_cmp_gt_i32_e32 vcc, 1, v7
	v_cndmask_b32_e32 v0, v9, v0, vcc
	v_and_b32_e32 v9, 7, v0
	v_lshrrev_b32_e32 v8, 2, v0
	v_cvt_f64_f32_e32 v[0:1], v1
	v_cmp_lt_i32_e32 vcc, 5, v9
	v_cmp_eq_u32_e64 s[0:1], 3, v9
	s_or_b64 vcc, s[0:1], vcc
	v_mul_f64 v[0:1], v[0:1], s[2:3]
	v_addc_co_u32_e32 v8, vcc, 0, v8, vcc
	v_cmp_gt_i32_e32 vcc, 31, v7
	v_cndmask_b32_e32 v8, v10, v8, vcc
	v_cmp_ne_u32_e32 vcc, 0, v4
	v_cndmask_b32_e64 v4, 0, 1, vcc
	v_lshl_or_b32 v4, v4, 9, v10
	v_cmp_eq_u32_e32 vcc, s9, v7
	v_and_or_b32 v0, v1, s6, v0
	v_cndmask_b32_e32 v4, v8, v4, vcc
	v_lshrrev_b32_e32 v5, 16, v5
	v_cmp_ne_u32_e32 vcc, 0, v0
	v_and_or_b32 v7, v5, s8, v4
	v_cndmask_b32_e64 v0, 0, 1, vcc
	v_lshrrev_b32_e32 v4, 8, v1
	v_bfe_u32 v5, v1, 20, 11
	v_and_or_b32 v0, v4, s7, v0
	v_sub_u32_e32 v8, 0x3f1, v5
	v_or_b32_e32 v4, 0x1000, v0
	v_med3_i32 v8, v8, 0, 13
	v_lshrrev_b32_e32 v9, v8, v4
	v_lshlrev_b32_e32 v8, v8, v9
	v_cmp_ne_u32_e32 vcc, v8, v4
	v_cndmask_b32_e64 v4, 0, 1, vcc
	v_add_u32_e32 v8, 0xfffffc10, v5
	v_or_b32_e32 v4, v9, v4
	v_lshl_or_b32 v5, v8, 12, v0
	v_cmp_gt_i32_e32 vcc, 1, v8
	ds_read_b32 v6, v14 offset:40
	v_cndmask_b32_e32 v4, v5, v4, vcc
	v_and_b32_e32 v5, 7, v4
	v_cmp_lt_i32_e32 vcc, 5, v5
	v_cmp_eq_u32_e64 s[0:1], 3, v5
	v_lshrrev_b32_e32 v4, 2, v4
	s_or_b64 vcc, s[0:1], vcc
	v_addc_co_u32_e32 v4, vcc, 0, v4, vcc
	v_cmp_gt_i32_e32 vcc, 31, v8
	s_waitcnt lgkmcnt(0)
	v_lshrrev_b32_e32 v12, 16, v6
	v_cndmask_b32_e32 v9, v10, v4, vcc
	v_mul_f16_sdwa v4, v11, v12 dst_sel:DWORD dst_unused:UNUSED_PAD src0_sel:WORD_1 src1_sel:DWORD
	v_fma_f16 v4, v11, v6, v4
	v_cvt_f32_f16_e32 v4, v4
	v_cmp_ne_u32_e32 vcc, 0, v0
	v_cndmask_b32_e64 v0, 0, 1, vcc
	v_lshl_or_b32 v0, v0, 9, v10
	v_cvt_f64_f32_e32 v[4:5], v4
	v_cmp_eq_u32_e32 vcc, s9, v8
	v_cndmask_b32_e32 v0, v9, v0, vcc
	v_lshrrev_b32_e32 v1, 16, v1
	v_and_or_b32 v8, v1, s8, v0
	v_mul_f64 v[0:1], v[4:5], s[2:3]
	v_mad_u64_u32 v[2:3], s[0:1], s4, 20, v[2:3]
	v_and_b32_e32 v4, 0xffff, v7
	s_mul_i32 s5, s5, 20
	v_lshl_or_b32 v4, v8, 16, v4
	v_add_u32_e32 v3, s5, v3
	global_store_dword v[2:3], v4, off
	v_and_or_b32 v0, v1, s6, v0
	v_cmp_ne_u32_e32 vcc, 0, v0
	v_cndmask_b32_e64 v0, 0, 1, vcc
	v_lshrrev_b32_e32 v4, 8, v1
	v_bfe_u32 v5, v1, 20, 11
	v_and_or_b32 v0, v4, s7, v0
	v_sub_u32_e32 v7, 0x3f1, v5
	v_or_b32_e32 v4, 0x1000, v0
	v_med3_i32 v7, v7, 0, 13
	v_lshrrev_b32_e32 v8, v7, v4
	v_lshlrev_b32_e32 v7, v7, v8
	v_mul_f16_sdwa v6, v11, v6 dst_sel:DWORD dst_unused:UNUSED_PAD src0_sel:WORD_1 src1_sel:DWORD
	v_cmp_ne_u32_e32 vcc, v7, v4
	v_fma_f16 v6, v11, v12, -v6
	v_cndmask_b32_e64 v4, 0, 1, vcc
	v_add_u32_e32 v7, 0xfffffc10, v5
	v_cvt_f32_f16_e32 v6, v6
	v_or_b32_e32 v4, v8, v4
	v_lshl_or_b32 v5, v7, 12, v0
	v_cmp_gt_i32_e32 vcc, 1, v7
	v_cndmask_b32_e32 v4, v5, v4, vcc
	v_and_b32_e32 v5, 7, v4
	v_cmp_lt_i32_e32 vcc, 5, v5
	v_cmp_eq_u32_e64 s[0:1], 3, v5
	v_lshrrev_b32_e32 v8, 2, v4
	v_cvt_f64_f32_e32 v[4:5], v6
	s_or_b64 vcc, s[0:1], vcc
	v_addc_co_u32_e32 v6, vcc, 0, v8, vcc
	v_mul_f64 v[4:5], v[4:5], s[2:3]
	v_cmp_gt_i32_e32 vcc, 31, v7
	v_cndmask_b32_e32 v6, v10, v6, vcc
	v_cmp_ne_u32_e32 vcc, 0, v0
	v_cndmask_b32_e64 v0, 0, 1, vcc
	v_lshl_or_b32 v0, v0, 9, v10
	v_cmp_eq_u32_e32 vcc, s9, v7
	v_cndmask_b32_e32 v0, v6, v0, vcc
	v_lshrrev_b32_e32 v1, 16, v1
	v_and_or_b32 v6, v1, s8, v0
	v_and_or_b32 v0, v5, s6, v4
	v_cmp_ne_u32_e32 vcc, 0, v0
	v_cndmask_b32_e64 v0, 0, 1, vcc
	v_lshrrev_b32_e32 v1, 8, v5
	v_bfe_u32 v4, v5, 20, 11
	v_and_or_b32 v0, v1, s7, v0
	v_sub_u32_e32 v7, 0x3f1, v4
	v_or_b32_e32 v1, 0x1000, v0
	v_med3_i32 v7, v7, 0, 13
	v_lshrrev_b32_e32 v8, v7, v1
	v_lshlrev_b32_e32 v7, v7, v8
	v_cmp_ne_u32_e32 vcc, v7, v1
	v_cndmask_b32_e64 v1, 0, 1, vcc
	v_add_u32_e32 v4, 0xfffffc10, v4
	v_or_b32_e32 v1, v8, v1
	v_lshl_or_b32 v7, v4, 12, v0
	v_cmp_gt_i32_e32 vcc, 1, v4
	v_cndmask_b32_e32 v1, v7, v1, vcc
	v_and_b32_e32 v7, 7, v1
	v_cmp_lt_i32_e32 vcc, 5, v7
	v_cmp_eq_u32_e64 s[0:1], 3, v7
	v_lshrrev_b32_e32 v1, 2, v1
	s_or_b64 vcc, s[0:1], vcc
	v_addc_co_u32_e32 v1, vcc, 0, v1, vcc
	v_cmp_gt_i32_e32 vcc, 31, v4
	v_cndmask_b32_e32 v1, v10, v1, vcc
	v_cmp_ne_u32_e32 vcc, 0, v0
	v_cndmask_b32_e64 v0, 0, 1, vcc
	v_lshl_or_b32 v0, v0, 9, v10
	v_cmp_eq_u32_e32 vcc, s9, v4
	v_cndmask_b32_e32 v4, v1, v0, vcc
	v_mad_u64_u32 v[0:1], s[0:1], s4, 20, v[2:3]
	v_lshrrev_b32_e32 v5, 16, v5
	v_and_or_b32 v2, v5, s8, v4
	v_and_b32_e32 v3, 0xffff, v6
	v_lshl_or_b32 v2, v2, 16, v3
	v_add_u32_e32 v1, s5, v1
	global_store_dword v[0:1], v2, off
.LBB0_10:
	s_endpgm
	.section	.rodata,"a",@progbits
	.p2align	6, 0x0
	.amdhsa_kernel bluestein_single_fwd_len15_dim1_half_op_CI_CI
		.amdhsa_group_segment_fixed_size 1500
		.amdhsa_private_segment_fixed_size 0
		.amdhsa_kernarg_size 104
		.amdhsa_user_sgpr_count 6
		.amdhsa_user_sgpr_private_segment_buffer 1
		.amdhsa_user_sgpr_dispatch_ptr 0
		.amdhsa_user_sgpr_queue_ptr 0
		.amdhsa_user_sgpr_kernarg_segment_ptr 1
		.amdhsa_user_sgpr_dispatch_id 0
		.amdhsa_user_sgpr_flat_scratch_init 0
		.amdhsa_user_sgpr_private_segment_size 0
		.amdhsa_uses_dynamic_stack 0
		.amdhsa_system_sgpr_private_segment_wavefront_offset 0
		.amdhsa_system_sgpr_workgroup_id_x 1
		.amdhsa_system_sgpr_workgroup_id_y 0
		.amdhsa_system_sgpr_workgroup_id_z 0
		.amdhsa_system_sgpr_workgroup_info 0
		.amdhsa_system_vgpr_workitem_id 0
		.amdhsa_next_free_vgpr 45
		.amdhsa_next_free_sgpr 20
		.amdhsa_reserve_vcc 1
		.amdhsa_reserve_flat_scratch 0
		.amdhsa_float_round_mode_32 0
		.amdhsa_float_round_mode_16_64 0
		.amdhsa_float_denorm_mode_32 3
		.amdhsa_float_denorm_mode_16_64 3
		.amdhsa_dx10_clamp 1
		.amdhsa_ieee_mode 1
		.amdhsa_fp16_overflow 0
		.amdhsa_exception_fp_ieee_invalid_op 0
		.amdhsa_exception_fp_denorm_src 0
		.amdhsa_exception_fp_ieee_div_zero 0
		.amdhsa_exception_fp_ieee_overflow 0
		.amdhsa_exception_fp_ieee_underflow 0
		.amdhsa_exception_fp_ieee_inexact 0
		.amdhsa_exception_int_div_zero 0
	.end_amdhsa_kernel
	.text
.Lfunc_end0:
	.size	bluestein_single_fwd_len15_dim1_half_op_CI_CI, .Lfunc_end0-bluestein_single_fwd_len15_dim1_half_op_CI_CI
                                        ; -- End function
	.section	.AMDGPU.csdata,"",@progbits
; Kernel info:
; codeLenInByte = 4024
; NumSgprs: 24
; NumVgprs: 45
; ScratchSize: 0
; MemoryBound: 0
; FloatMode: 240
; IeeeMode: 1
; LDSByteSize: 1500 bytes/workgroup (compile time only)
; SGPRBlocks: 2
; VGPRBlocks: 11
; NumSGPRsForWavesPerEU: 24
; NumVGPRsForWavesPerEU: 45
; Occupancy: 5
; WaveLimiterHint : 1
; COMPUTE_PGM_RSRC2:SCRATCH_EN: 0
; COMPUTE_PGM_RSRC2:USER_SGPR: 6
; COMPUTE_PGM_RSRC2:TRAP_HANDLER: 0
; COMPUTE_PGM_RSRC2:TGID_X_EN: 1
; COMPUTE_PGM_RSRC2:TGID_Y_EN: 0
; COMPUTE_PGM_RSRC2:TGID_Z_EN: 0
; COMPUTE_PGM_RSRC2:TIDIG_COMP_CNT: 0
	.type	__hip_cuid_737f1fe41609743,@object ; @__hip_cuid_737f1fe41609743
	.section	.bss,"aw",@nobits
	.globl	__hip_cuid_737f1fe41609743
__hip_cuid_737f1fe41609743:
	.byte	0                               ; 0x0
	.size	__hip_cuid_737f1fe41609743, 1

	.ident	"AMD clang version 19.0.0git (https://github.com/RadeonOpenCompute/llvm-project roc-6.4.0 25133 c7fe45cf4b819c5991fe208aaa96edf142730f1d)"
	.section	".note.GNU-stack","",@progbits
	.addrsig
	.addrsig_sym __hip_cuid_737f1fe41609743
	.amdgpu_metadata
---
amdhsa.kernels:
  - .args:
      - .actual_access:  read_only
        .address_space:  global
        .offset:         0
        .size:           8
        .value_kind:     global_buffer
      - .actual_access:  read_only
        .address_space:  global
        .offset:         8
        .size:           8
        .value_kind:     global_buffer
      - .actual_access:  read_only
        .address_space:  global
        .offset:         16
        .size:           8
        .value_kind:     global_buffer
      - .actual_access:  read_only
        .address_space:  global
        .offset:         24
        .size:           8
        .value_kind:     global_buffer
      - .actual_access:  read_only
        .address_space:  global
        .offset:         32
        .size:           8
        .value_kind:     global_buffer
      - .offset:         40
        .size:           8
        .value_kind:     by_value
      - .address_space:  global
        .offset:         48
        .size:           8
        .value_kind:     global_buffer
      - .address_space:  global
        .offset:         56
        .size:           8
        .value_kind:     global_buffer
      - .address_space:  global
        .offset:         64
        .size:           8
        .value_kind:     global_buffer
      - .address_space:  global
        .offset:         72
        .size:           8
        .value_kind:     global_buffer
      - .offset:         80
        .size:           4
        .value_kind:     by_value
      - .address_space:  global
        .offset:         88
        .size:           8
        .value_kind:     global_buffer
      - .address_space:  global
        .offset:         96
        .size:           8
        .value_kind:     global_buffer
    .group_segment_fixed_size: 1500
    .kernarg_segment_align: 8
    .kernarg_segment_size: 104
    .language:       OpenCL C
    .language_version:
      - 2
      - 0
    .max_flat_workgroup_size: 125
    .name:           bluestein_single_fwd_len15_dim1_half_op_CI_CI
    .private_segment_fixed_size: 0
    .sgpr_count:     24
    .sgpr_spill_count: 0
    .symbol:         bluestein_single_fwd_len15_dim1_half_op_CI_CI.kd
    .uniform_work_group_size: 1
    .uses_dynamic_stack: false
    .vgpr_count:     45
    .vgpr_spill_count: 0
    .wavefront_size: 64
amdhsa.target:   amdgcn-amd-amdhsa--gfx906
amdhsa.version:
  - 1
  - 2
...

	.end_amdgpu_metadata
